;; amdgpu-corpus repo=ROCm/rocFFT kind=compiled arch=gfx1030 opt=O3
	.text
	.amdgcn_target "amdgcn-amd-amdhsa--gfx1030"
	.amdhsa_code_object_version 6
	.protected	fft_rtc_back_len176_factors_11_16_wgs_64_tpt_16_halfLds_dp_op_CI_CI_unitstride_sbrr_dirReg ; -- Begin function fft_rtc_back_len176_factors_11_16_wgs_64_tpt_16_halfLds_dp_op_CI_CI_unitstride_sbrr_dirReg
	.globl	fft_rtc_back_len176_factors_11_16_wgs_64_tpt_16_halfLds_dp_op_CI_CI_unitstride_sbrr_dirReg
	.p2align	8
	.type	fft_rtc_back_len176_factors_11_16_wgs_64_tpt_16_halfLds_dp_op_CI_CI_unitstride_sbrr_dirReg,@function
fft_rtc_back_len176_factors_11_16_wgs_64_tpt_16_halfLds_dp_op_CI_CI_unitstride_sbrr_dirReg: ; @fft_rtc_back_len176_factors_11_16_wgs_64_tpt_16_halfLds_dp_op_CI_CI_unitstride_sbrr_dirReg
; %bb.0:
	s_clause 0x2
	s_load_dwordx4 s[12:15], s[4:5], 0x0
	s_load_dwordx4 s[8:11], s[4:5], 0x58
	;; [unrolled: 1-line block ×3, first 2 shown]
	v_lshrrev_b32_e32 v28, 4, v0
	v_mov_b32_e32 v1, 0
	v_mov_b32_e32 v4, 0
	;; [unrolled: 1-line block ×3, first 2 shown]
	v_lshl_or_b32 v6, s6, 2, v28
	v_mov_b32_e32 v7, v1
	s_waitcnt lgkmcnt(0)
	v_cmp_lt_u64_e64 s0, s[14:15], 2
	s_and_b32 vcc_lo, exec_lo, s0
	s_cbranch_vccnz .LBB0_8
; %bb.1:
	s_load_dwordx2 s[0:1], s[4:5], 0x10
	v_mov_b32_e32 v4, 0
	v_mov_b32_e32 v5, 0
	s_add_u32 s2, s18, 8
	s_addc_u32 s3, s19, 0
	s_add_u32 s6, s16, 8
	s_addc_u32 s7, s17, 0
	v_mov_b32_e32 v57, v5
	v_mov_b32_e32 v56, v4
	s_mov_b64 s[22:23], 1
	s_waitcnt lgkmcnt(0)
	s_add_u32 s20, s0, 8
	s_addc_u32 s21, s1, 0
.LBB0_2:                                ; =>This Inner Loop Header: Depth=1
	s_load_dwordx2 s[24:25], s[20:21], 0x0
                                        ; implicit-def: $vgpr58_vgpr59
	s_mov_b32 s0, exec_lo
	s_waitcnt lgkmcnt(0)
	v_or_b32_e32 v2, s25, v7
	v_cmpx_ne_u64_e32 0, v[1:2]
	s_xor_b32 s1, exec_lo, s0
	s_cbranch_execz .LBB0_4
; %bb.3:                                ;   in Loop: Header=BB0_2 Depth=1
	v_cvt_f32_u32_e32 v2, s24
	v_cvt_f32_u32_e32 v3, s25
	s_sub_u32 s0, 0, s24
	s_subb_u32 s26, 0, s25
	v_fmac_f32_e32 v2, 0x4f800000, v3
	v_rcp_f32_e32 v2, v2
	v_mul_f32_e32 v2, 0x5f7ffffc, v2
	v_mul_f32_e32 v3, 0x2f800000, v2
	v_trunc_f32_e32 v3, v3
	v_fmac_f32_e32 v2, 0xcf800000, v3
	v_cvt_u32_f32_e32 v3, v3
	v_cvt_u32_f32_e32 v2, v2
	v_mul_lo_u32 v8, s0, v3
	v_mul_hi_u32 v9, s0, v2
	v_mul_lo_u32 v10, s26, v2
	v_add_nc_u32_e32 v8, v9, v8
	v_mul_lo_u32 v9, s0, v2
	v_add_nc_u32_e32 v8, v8, v10
	v_mul_hi_u32 v10, v2, v9
	v_mul_lo_u32 v11, v2, v8
	v_mul_hi_u32 v12, v2, v8
	v_mul_hi_u32 v13, v3, v9
	v_mul_lo_u32 v9, v3, v9
	v_mul_hi_u32 v14, v3, v8
	v_mul_lo_u32 v8, v3, v8
	v_add_co_u32 v10, vcc_lo, v10, v11
	v_add_co_ci_u32_e32 v11, vcc_lo, 0, v12, vcc_lo
	v_add_co_u32 v9, vcc_lo, v10, v9
	v_add_co_ci_u32_e32 v9, vcc_lo, v11, v13, vcc_lo
	v_add_co_ci_u32_e32 v10, vcc_lo, 0, v14, vcc_lo
	v_add_co_u32 v8, vcc_lo, v9, v8
	v_add_co_ci_u32_e32 v9, vcc_lo, 0, v10, vcc_lo
	v_add_co_u32 v2, vcc_lo, v2, v8
	v_add_co_ci_u32_e32 v3, vcc_lo, v3, v9, vcc_lo
	v_mul_hi_u32 v8, s0, v2
	v_mul_lo_u32 v10, s26, v2
	v_mul_lo_u32 v9, s0, v3
	v_add_nc_u32_e32 v8, v8, v9
	v_mul_lo_u32 v9, s0, v2
	v_add_nc_u32_e32 v8, v8, v10
	v_mul_hi_u32 v10, v2, v9
	v_mul_lo_u32 v11, v2, v8
	v_mul_hi_u32 v12, v2, v8
	v_mul_hi_u32 v13, v3, v9
	v_mul_lo_u32 v9, v3, v9
	v_mul_hi_u32 v14, v3, v8
	v_mul_lo_u32 v8, v3, v8
	v_add_co_u32 v10, vcc_lo, v10, v11
	v_add_co_ci_u32_e32 v11, vcc_lo, 0, v12, vcc_lo
	v_add_co_u32 v9, vcc_lo, v10, v9
	v_add_co_ci_u32_e32 v9, vcc_lo, v11, v13, vcc_lo
	v_add_co_ci_u32_e32 v10, vcc_lo, 0, v14, vcc_lo
	v_add_co_u32 v8, vcc_lo, v9, v8
	v_add_co_ci_u32_e32 v9, vcc_lo, 0, v10, vcc_lo
	v_add_co_u32 v8, vcc_lo, v2, v8
	v_add_co_ci_u32_e32 v10, vcc_lo, v3, v9, vcc_lo
	v_mul_hi_u32 v12, v6, v8
	v_mad_u64_u32 v[8:9], null, v7, v8, 0
	v_mad_u64_u32 v[2:3], null, v6, v10, 0
	;; [unrolled: 1-line block ×3, first 2 shown]
	v_add_co_u32 v2, vcc_lo, v12, v2
	v_add_co_ci_u32_e32 v3, vcc_lo, 0, v3, vcc_lo
	v_add_co_u32 v2, vcc_lo, v2, v8
	v_add_co_ci_u32_e32 v2, vcc_lo, v3, v9, vcc_lo
	v_add_co_ci_u32_e32 v3, vcc_lo, 0, v11, vcc_lo
	v_add_co_u32 v8, vcc_lo, v2, v10
	v_add_co_ci_u32_e32 v9, vcc_lo, 0, v3, vcc_lo
	v_mul_lo_u32 v10, s25, v8
	v_mad_u64_u32 v[2:3], null, s24, v8, 0
	v_mul_lo_u32 v11, s24, v9
	v_sub_co_u32 v2, vcc_lo, v6, v2
	v_add3_u32 v3, v3, v11, v10
	v_sub_nc_u32_e32 v10, v7, v3
	v_subrev_co_ci_u32_e64 v10, s0, s25, v10, vcc_lo
	v_add_co_u32 v11, s0, v8, 2
	v_add_co_ci_u32_e64 v12, s0, 0, v9, s0
	v_sub_co_u32 v13, s0, v2, s24
	v_sub_co_ci_u32_e32 v3, vcc_lo, v7, v3, vcc_lo
	v_subrev_co_ci_u32_e64 v10, s0, 0, v10, s0
	v_cmp_le_u32_e32 vcc_lo, s24, v13
	v_cmp_eq_u32_e64 s0, s25, v3
	v_cndmask_b32_e64 v13, 0, -1, vcc_lo
	v_cmp_le_u32_e32 vcc_lo, s25, v10
	v_cndmask_b32_e64 v14, 0, -1, vcc_lo
	v_cmp_le_u32_e32 vcc_lo, s24, v2
	;; [unrolled: 2-line block ×3, first 2 shown]
	v_cndmask_b32_e64 v15, 0, -1, vcc_lo
	v_cmp_eq_u32_e32 vcc_lo, s25, v10
	v_cndmask_b32_e64 v2, v15, v2, s0
	v_cndmask_b32_e32 v10, v14, v13, vcc_lo
	v_add_co_u32 v13, vcc_lo, v8, 1
	v_add_co_ci_u32_e32 v14, vcc_lo, 0, v9, vcc_lo
	v_cmp_ne_u32_e32 vcc_lo, 0, v10
	v_cndmask_b32_e32 v3, v14, v12, vcc_lo
	v_cndmask_b32_e32 v10, v13, v11, vcc_lo
	v_cmp_ne_u32_e32 vcc_lo, 0, v2
	v_cndmask_b32_e32 v59, v9, v3, vcc_lo
	v_cndmask_b32_e32 v58, v8, v10, vcc_lo
.LBB0_4:                                ;   in Loop: Header=BB0_2 Depth=1
	s_andn2_saveexec_b32 s0, s1
	s_cbranch_execz .LBB0_6
; %bb.5:                                ;   in Loop: Header=BB0_2 Depth=1
	v_cvt_f32_u32_e32 v2, s24
	s_sub_i32 s1, 0, s24
	v_mov_b32_e32 v59, v1
	v_rcp_iflag_f32_e32 v2, v2
	v_mul_f32_e32 v2, 0x4f7ffffe, v2
	v_cvt_u32_f32_e32 v2, v2
	v_mul_lo_u32 v3, s1, v2
	v_mul_hi_u32 v3, v2, v3
	v_add_nc_u32_e32 v2, v2, v3
	v_mul_hi_u32 v2, v6, v2
	v_mul_lo_u32 v3, v2, s24
	v_add_nc_u32_e32 v8, 1, v2
	v_sub_nc_u32_e32 v3, v6, v3
	v_subrev_nc_u32_e32 v9, s24, v3
	v_cmp_le_u32_e32 vcc_lo, s24, v3
	v_cndmask_b32_e32 v3, v3, v9, vcc_lo
	v_cndmask_b32_e32 v2, v2, v8, vcc_lo
	v_cmp_le_u32_e32 vcc_lo, s24, v3
	v_add_nc_u32_e32 v8, 1, v2
	v_cndmask_b32_e32 v58, v2, v8, vcc_lo
.LBB0_6:                                ;   in Loop: Header=BB0_2 Depth=1
	s_or_b32 exec_lo, exec_lo, s0
	v_mul_lo_u32 v8, v59, s24
	v_mul_lo_u32 v9, v58, s25
	s_load_dwordx2 s[0:1], s[6:7], 0x0
	v_mad_u64_u32 v[2:3], null, v58, s24, 0
	s_load_dwordx2 s[24:25], s[2:3], 0x0
	s_add_u32 s22, s22, 1
	s_addc_u32 s23, s23, 0
	s_add_u32 s2, s2, 8
	s_addc_u32 s3, s3, 0
	s_add_u32 s6, s6, 8
	v_add3_u32 v3, v3, v9, v8
	v_sub_co_u32 v2, vcc_lo, v6, v2
	s_addc_u32 s7, s7, 0
	s_add_u32 s20, s20, 8
	v_sub_co_ci_u32_e32 v3, vcc_lo, v7, v3, vcc_lo
	s_addc_u32 s21, s21, 0
	s_waitcnt lgkmcnt(0)
	v_mul_lo_u32 v6, s0, v3
	v_mul_lo_u32 v7, s1, v2
	v_mad_u64_u32 v[4:5], null, s0, v2, v[4:5]
	v_mul_lo_u32 v3, s24, v3
	v_mul_lo_u32 v8, s25, v2
	v_mad_u64_u32 v[56:57], null, s24, v2, v[56:57]
	v_cmp_ge_u64_e64 s0, s[22:23], s[14:15]
	v_add3_u32 v5, v7, v5, v6
	v_add3_u32 v57, v8, v57, v3
	s_and_b32 vcc_lo, exec_lo, s0
	s_cbranch_vccnz .LBB0_9
; %bb.7:                                ;   in Loop: Header=BB0_2 Depth=1
	v_mov_b32_e32 v6, v58
	v_mov_b32_e32 v7, v59
	s_branch .LBB0_2
.LBB0_8:
	v_mov_b32_e32 v57, v5
	v_mov_b32_e32 v59, v7
	;; [unrolled: 1-line block ×4, first 2 shown]
.LBB0_9:
	s_load_dwordx2 s[0:1], s[4:5], 0x28
	s_lshl_b64 s[4:5], s[14:15], 3
	v_and_b32_e32 v60, 15, v0
	s_add_u32 s2, s18, s4
	s_addc_u32 s3, s19, s5
	s_waitcnt lgkmcnt(0)
	v_cmp_gt_u64_e32 vcc_lo, s[0:1], v[58:59]
	v_cmp_le_u64_e64 s0, s[0:1], v[58:59]
	s_and_saveexec_b32 s1, s0
	s_xor_b32 s0, exec_lo, s1
; %bb.10:
	v_and_b32_e32 v60, 15, v0
                                        ; implicit-def: $vgpr4_vgpr5
; %bb.11:
	s_or_saveexec_b32 s1, s0
                                        ; implicit-def: $vgpr54_vgpr55
                                        ; implicit-def: $vgpr46_vgpr47
                                        ; implicit-def: $vgpr50_vgpr51
                                        ; implicit-def: $vgpr38_vgpr39
                                        ; implicit-def: $vgpr26_vgpr27
                                        ; implicit-def: $vgpr14_vgpr15
                                        ; implicit-def: $vgpr10_vgpr11
                                        ; implicit-def: $vgpr2_vgpr3
                                        ; implicit-def: $vgpr6_vgpr7
                                        ; implicit-def: $vgpr22_vgpr23
                                        ; implicit-def: $vgpr18_vgpr19
	s_xor_b32 exec_lo, exec_lo, s1
	s_cbranch_execz .LBB0_13
; %bb.12:
	s_add_u32 s4, s16, s4
	s_addc_u32 s5, s17, s5
	v_lshlrev_b32_e32 v6, 4, v60
	s_load_dwordx2 s[4:5], s[4:5], 0x0
	v_or_b32_e32 v9, 0xa00, v6
	s_waitcnt lgkmcnt(0)
	v_mul_lo_u32 v2, s5, v58
	v_mul_lo_u32 v3, s4, v59
	v_mad_u64_u32 v[0:1], null, s4, v58, 0
	v_add3_u32 v1, v1, v3, v2
	v_lshlrev_b64 v[2:3], 4, v[4:5]
	v_or_b32_e32 v4, 0x800, v6
	v_or_b32_e32 v5, 0x900, v6
	v_lshlrev_b64 v[0:1], 4, v[0:1]
	v_add_co_u32 v0, s0, s8, v0
	v_add_co_ci_u32_e64 v1, s0, s9, v1, s0
	v_add_co_u32 v7, s0, v0, v2
	v_add_co_ci_u32_e64 v8, s0, v1, v3, s0
	;; [unrolled: 2-line block ×6, first 2 shown]
	s_clause 0xa
	global_load_dwordx4 v[16:19], v[0:1], off
	global_load_dwordx4 v[52:55], v[0:1], off offset:256
	global_load_dwordx4 v[44:47], v[0:1], off offset:512
	global_load_dwordx4 v[48:51], v[0:1], off offset:768
	global_load_dwordx4 v[36:39], v[0:1], off offset:1024
	global_load_dwordx4 v[24:27], v[0:1], off offset:1280
	global_load_dwordx4 v[20:23], v[0:1], off offset:1536
	global_load_dwordx4 v[12:15], v[0:1], off offset:1792
	global_load_dwordx4 v[8:11], v[2:3], off
	global_load_dwordx4 v[4:7], v[4:5], off
	;; [unrolled: 1-line block ×3, first 2 shown]
.LBB0_13:
	s_or_b32 exec_lo, exec_lo, s1
	s_waitcnt vmcnt(9)
	v_add_f64 v[29:30], v[52:53], v[16:17]
	s_waitcnt vmcnt(0)
	v_add_f64 v[31:32], v[54:55], -v[2:3]
	s_mov_b32 s24, 0xf8bb580b
	s_mov_b32 s34, 0x8eee2c13
	;; [unrolled: 1-line block ×10, first 2 shown]
	v_add_f64 v[33:34], v[52:53], v[0:1]
	v_add_f64 v[40:41], v[46:47], -v[6:7]
	s_mov_b32 s8, 0x8764f0ba
	s_mov_b32 s6, 0xd9c712b6
	;; [unrolled: 1-line block ×8, first 2 shown]
	v_add_f64 v[29:30], v[44:45], v[29:30]
	v_mul_f64 v[73:74], v[31:32], s[24:25]
	v_mul_f64 v[75:76], v[31:32], s[34:35]
	;; [unrolled: 1-line block ×5, first 2 shown]
	s_mov_b32 s15, 0xbfe4f49e
	s_mov_b32 s17, 0xbfeeb42a
	;; [unrolled: 1-line block ×8, first 2 shown]
	v_add_f64 v[42:43], v[44:45], v[4:5]
	v_add_f64 v[61:62], v[50:51], -v[10:11]
	v_mul_f64 v[81:82], v[40:41], s[34:35]
	v_mul_f64 v[83:84], v[40:41], s[22:23]
	v_mul_f64 v[85:86], v[40:41], s[36:37]
	v_mul_f64 v[87:88], v[40:41], s[30:31]
	v_mul_f64 v[40:41], v[40:41], s[28:29]
	s_mov_b32 s21, 0x3fed1bb4
	v_add_f64 v[29:30], v[48:49], v[29:30]
	v_fma_f64 v[109:110], v[33:34], s[8:9], v[73:74]
	v_fma_f64 v[111:112], v[33:34], s[6:7], v[75:76]
	v_fma_f64 v[75:76], v[33:34], s[6:7], -v[75:76]
	v_fma_f64 v[113:114], v[33:34], s[4:5], v[77:78]
	v_fma_f64 v[115:116], v[33:34], s[14:15], v[79:80]
	v_fma_f64 v[79:80], v[33:34], s[14:15], -v[79:80]
	v_fma_f64 v[117:118], v[33:34], s[16:17], v[31:32]
	v_fma_f64 v[31:32], v[33:34], s[16:17], -v[31:32]
	v_fma_f64 v[77:78], v[33:34], s[4:5], -v[77:78]
	;; [unrolled: 1-line block ×3, first 2 shown]
	s_mov_b32 s20, s34
	v_add_f64 v[63:64], v[48:49], v[8:9]
	v_add_f64 v[65:66], v[38:39], -v[14:15]
	v_add_f64 v[67:68], v[36:37], v[12:13]
	v_mul_f64 v[89:90], v[61:62], s[18:19]
	v_mul_f64 v[91:92], v[61:62], s[36:37]
	;; [unrolled: 1-line block ×5, first 2 shown]
	v_fma_f64 v[119:120], v[42:43], s[6:7], v[81:82]
	v_fma_f64 v[81:82], v[42:43], s[6:7], -v[81:82]
	v_add_f64 v[29:30], v[36:37], v[29:30]
	v_fma_f64 v[121:122], v[42:43], s[14:15], v[83:84]
	v_fma_f64 v[83:84], v[42:43], s[14:15], -v[83:84]
	v_fma_f64 v[123:124], v[42:43], s[16:17], v[85:86]
	v_fma_f64 v[85:86], v[42:43], s[16:17], -v[85:86]
	;; [unrolled: 2-line block ×4, first 2 shown]
	v_add_f64 v[42:43], v[109:110], v[16:17]
	v_add_f64 v[109:110], v[111:112], v[16:17]
	;; [unrolled: 1-line block ×10, first 2 shown]
	v_add_f64 v[69:70], v[26:27], -v[22:23]
	v_mul_f64 v[97:98], v[65:66], s[22:23]
	v_mul_f64 v[99:100], v[65:66], s[30:31]
	v_add_f64 v[29:30], v[24:25], v[29:30]
	v_mul_f64 v[101:102], v[65:66], s[24:25]
	v_mul_f64 v[103:104], v[65:66], s[26:27]
	v_mul_f64 v[65:66], v[65:66], s[20:21]
	v_fma_f64 v[117:118], v[63:64], s[4:5], v[89:90]
	v_fma_f64 v[89:90], v[63:64], s[4:5], -v[89:90]
	v_fma_f64 v[129:130], v[63:64], s[16:17], v[91:92]
	v_fma_f64 v[91:92], v[63:64], s[16:17], -v[91:92]
	;; [unrolled: 2-line block ×5, first 2 shown]
	v_add_f64 v[42:43], v[119:120], v[42:43]
	v_add_f64 v[63:64], v[121:122], v[109:110]
	;; [unrolled: 1-line block ×12, first 2 shown]
	v_mul_f64 v[105:106], v[69:70], s[26:27]
	v_mul_f64 v[107:108], v[69:70], s[28:29]
	v_mul_f64 v[73:74], v[69:70], s[22:23]
	v_mul_f64 v[33:34], v[69:70], s[20:21]
	v_mul_f64 v[69:70], v[69:70], s[18:19]
	v_fma_f64 v[77:78], v[67:68], s[4:5], v[99:100]
	v_fma_f64 v[81:82], v[67:68], s[4:5], -v[99:100]
	v_fma_f64 v[85:86], v[67:68], s[8:9], v[101:102]
	v_fma_f64 v[99:100], v[67:68], s[8:9], -v[101:102]
	;; [unrolled: 2-line block ×5, first 2 shown]
	v_add_f64 v[42:43], v[117:118], v[42:43]
	v_add_f64 v[63:64], v[129:130], v[63:64]
	;; [unrolled: 1-line block ×11, first 2 shown]
	v_fma_f64 v[89:90], v[71:72], s[8:9], v[107:108]
	v_fma_f64 v[93:94], v[71:72], s[8:9], -v[107:108]
	v_fma_f64 v[95:96], v[71:72], s[14:15], v[73:74]
	v_fma_f64 v[73:74], v[71:72], s[14:15], -v[73:74]
	;; [unrolled: 2-line block ×5, first 2 shown]
	s_load_dwordx2 s[2:3], s[2:3], 0x0
	v_add_f64 v[42:43], v[113:114], v[42:43]
	v_add_f64 v[63:64], v[77:78], v[63:64]
	;; [unrolled: 1-line block ×11, first 2 shown]
	v_mul_u32_u24_e32 v28, 0xb0, v28
	v_cmp_gt_u32_e64 s0, 11, v60
	v_add_f64 v[61:62], v[61:62], v[42:43]
	v_add_f64 v[75:76], v[89:90], v[63:64]
	;; [unrolled: 1-line block ×11, first 2 shown]
	v_lshlrev_b32_e32 v79, 3, v60
	v_lshlrev_b32_e32 v80, 3, v28
                                        ; implicit-def: $vgpr73_vgpr74
                                        ; implicit-def: $vgpr32_vgpr33
	v_add_f64 v[16:17], v[0:1], v[29:30]
	v_mad_u32_u24 v30, 0x58, v60, 0
	v_lshl_add_u32 v81, v28, 3, v30
                                        ; implicit-def: $vgpr28_vgpr29
	ds_write2_b64 v81, v[75:76], v[71:72] offset0:2 offset1:3
	ds_write2_b64 v81, v[67:68], v[65:66] offset0:4 offset1:5
	;; [unrolled: 1-line block ×4, first 2 shown]
	ds_write_b64 v81, v[42:43] offset:80
	ds_write2_b64 v81, v[16:17], v[61:62] offset1:1
	s_waitcnt lgkmcnt(0)
	s_barrier
	buffer_gl0_inv
	s_and_saveexec_b32 s1, s0
	s_cbranch_execz .LBB0_15
; %bb.14:
	v_mul_i32_i24_e32 v16, 0xffffffb0, v60
	v_add3_u32 v69, v30, v16, v80
	v_add3_u32 v16, 0, v80, v79
	ds_read2_b64 v[61:64], v69 offset0:11 offset1:22
	ds_read2_b64 v[65:68], v69 offset0:33 offset1:44
	;; [unrolled: 1-line block ×7, first 2 shown]
	ds_read_b64 v[16:17], v16
	ds_read_b64 v[73:74], v69 offset:1320
	s_waitcnt lgkmcnt(8)
	v_mov_b32_e32 v76, v64
	s_waitcnt lgkmcnt(7)
	v_mov_b32_e32 v72, v66
	v_mov_b32_e32 v75, v63
	;; [unrolled: 1-line block ×3, first 2 shown]
	s_waitcnt lgkmcnt(6)
	v_mov_b32_e32 v65, v82
	s_waitcnt lgkmcnt(5)
	v_mov_b32_e32 v69, v86
	v_mov_b32_e32 v63, v88
	;; [unrolled: 1-line block ×7, first 2 shown]
.LBB0_15:
	s_or_b32 exec_lo, exec_lo, s1
	v_add_f64 v[82:83], v[54:55], v[18:19]
	v_add_f64 v[0:1], v[52:53], -v[0:1]
	v_add_f64 v[4:5], v[44:45], -v[4:5]
	;; [unrolled: 1-line block ×3, first 2 shown]
	v_add_f64 v[48:49], v[54:55], v[2:3]
	v_add_f64 v[12:13], v[36:37], -v[12:13]
	v_add_f64 v[36:37], v[46:47], v[6:7]
	v_add_f64 v[20:21], v[24:25], -v[20:21]
	v_add_f64 v[52:53], v[26:27], v[22:23]
	s_waitcnt lgkmcnt(0)
	s_barrier
	buffer_gl0_inv
	v_add_f64 v[82:83], v[46:47], v[82:83]
	v_add_f64 v[46:47], v[50:51], v[10:11]
	v_mul_f64 v[24:25], v[0:1], s[24:25]
	v_mul_f64 v[54:55], v[0:1], s[34:35]
	;; [unrolled: 1-line block ×18, first 2 shown]
	v_add_f64 v[44:45], v[50:51], v[82:83]
	v_add_f64 v[50:51], v[38:39], v[14:15]
	v_mul_f64 v[82:83], v[0:1], s[18:19]
	v_mul_f64 v[0:1], v[0:1], s[26:27]
	v_fma_f64 v[112:113], v[48:49], s[8:9], -v[24:25]
	v_fma_f64 v[114:115], v[48:49], s[6:7], -v[54:55]
	v_fma_f64 v[54:55], v[48:49], s[6:7], v[54:55]
	v_fma_f64 v[118:119], v[48:49], s[14:15], -v[84:85]
	v_fma_f64 v[84:85], v[48:49], s[14:15], v[84:85]
	v_fma_f64 v[24:25], v[48:49], s[8:9], v[24:25]
	v_fma_f64 v[122:123], v[36:37], s[14:15], -v[88:89]
	v_fma_f64 v[88:89], v[36:37], s[14:15], v[88:89]
	v_fma_f64 v[124:125], v[36:37], s[16:17], -v[90:91]
	;; [unrolled: 2-line block ×6, first 2 shown]
	v_fma_f64 v[98:99], v[46:47], s[8:9], v[98:99]
	v_add_f64 v[38:39], v[38:39], v[44:45]
	v_mul_f64 v[44:45], v[8:9], s[36:37]
	v_fma_f64 v[116:117], v[48:49], s[4:5], -v[82:83]
	v_fma_f64 v[120:121], v[48:49], s[16:17], -v[0:1]
	v_fma_f64 v[0:1], v[48:49], s[16:17], v[0:1]
	v_fma_f64 v[82:83], v[48:49], s[4:5], v[82:83]
	v_mul_f64 v[8:9], v[8:9], s[22:23]
	v_fma_f64 v[48:49], v[36:37], s[6:7], -v[86:87]
	v_fma_f64 v[86:87], v[36:37], s[6:7], v[86:87]
	v_add_f64 v[36:37], v[112:113], v[18:19]
	v_add_f64 v[112:113], v[114:115], v[18:19]
	;; [unrolled: 1-line block ×5, first 2 shown]
	v_mul_f64 v[38:39], v[20:21], s[22:23]
	v_add_f64 v[114:115], v[116:117], v[18:19]
	v_add_f64 v[116:117], v[118:119], v[18:19]
	;; [unrolled: 1-line block ×6, first 2 shown]
	v_fma_f64 v[120:121], v[46:47], s[16:17], -v[44:45]
	v_fma_f64 v[44:45], v[46:47], s[16:17], v[44:45]
	v_fma_f64 v[134:135], v[46:47], s[14:15], -v[8:9]
	v_fma_f64 v[8:9], v[46:47], s[14:15], v[8:9]
	v_add_f64 v[36:37], v[48:49], v[36:37]
	v_add_f64 v[48:49], v[88:89], v[54:55]
	;; [unrolled: 1-line block ×3, first 2 shown]
	v_mul_f64 v[24:25], v[20:21], s[20:21]
	v_mul_f64 v[20:21], v[20:21], s[18:19]
	v_add_f64 v[22:23], v[22:23], v[26:27]
	v_fma_f64 v[26:27], v[46:47], s[4:5], -v[94:95]
	v_fma_f64 v[94:95], v[46:47], s[4:5], v[94:95]
	v_add_f64 v[46:47], v[122:123], v[112:113]
	v_add_f64 v[54:55], v[124:125], v[114:115]
	;; [unrolled: 1-line block ×7, first 2 shown]
	v_fma_f64 v[82:83], v[50:51], s[14:15], v[100:101]
	v_fma_f64 v[86:87], v[50:51], s[4:5], -v[102:103]
	v_fma_f64 v[90:91], v[50:51], s[4:5], v[102:103]
	v_fma_f64 v[102:103], v[50:51], s[8:9], v[104:105]
	v_fma_f64 v[112:113], v[50:51], s[6:7], -v[12:13]
	v_fma_f64 v[12:13], v[50:51], s[6:7], v[12:13]
	v_add_f64 v[44:45], v[44:45], v[48:49]
	v_add_f64 v[14:15], v[14:15], v[22:23]
	v_fma_f64 v[22:23], v[50:51], s[14:15], -v[100:101]
	v_fma_f64 v[100:101], v[50:51], s[8:9], -v[104:105]
	;; [unrolled: 1-line block ×3, first 2 shown]
	v_fma_f64 v[106:107], v[50:51], s[16:17], v[106:107]
	v_add_f64 v[26:27], v[26:27], v[36:37]
	v_add_f64 v[36:37], v[120:121], v[46:47]
	;; [unrolled: 1-line block ×9, first 2 shown]
	v_fma_f64 v[84:85], v[52:53], s[16:17], v[108:109]
	v_fma_f64 v[18:19], v[52:53], s[8:9], -v[110:111]
	v_fma_f64 v[88:89], v[52:53], s[8:9], v[110:111]
	v_fma_f64 v[92:93], v[52:53], s[14:15], -v[38:39]
	v_fma_f64 v[94:95], v[52:53], s[14:15], v[38:39]
	v_fma_f64 v[96:97], v[52:53], s[6:7], -v[24:25]
	v_fma_f64 v[98:99], v[52:53], s[6:7], v[24:25]
	v_add_f64 v[10:11], v[10:11], v[14:15]
	v_fma_f64 v[14:15], v[52:53], s[16:17], -v[108:109]
	v_fma_f64 v[108:109], v[52:53], s[4:5], -v[20:21]
	v_fma_f64 v[20:21], v[52:53], s[4:5], v[20:21]
	v_add_f64 v[22:23], v[22:23], v[26:27]
	v_add_f64 v[26:27], v[86:87], v[36:37]
	;; [unrolled: 1-line block ×21, first 2 shown]
                                        ; implicit-def: $vgpr0_vgpr1
                                        ; implicit-def: $vgpr4_vgpr5
                                        ; implicit-def: $vgpr26_vgpr27
	v_add_f64 v[12:13], v[2:3], v[6:7]
	ds_write2_b64 v81, v[46:47], v[38:39] offset0:2 offset1:3
	ds_write2_b64 v81, v[14:15], v[22:23] offset0:4 offset1:5
	;; [unrolled: 1-line block ×4, first 2 shown]
	ds_write_b64 v81, v[10:11] offset:80
	ds_write2_b64 v81, v[12:13], v[24:25] offset1:1
	s_waitcnt lgkmcnt(0)
	s_barrier
	buffer_gl0_inv
	s_and_saveexec_b32 s1, s0
	s_cbranch_execz .LBB0_17
; %bb.16:
	v_add3_u32 v14, 0, v79, v80
	v_add3_u32 v12, 0, v80, v79
	ds_read2_b64 v[22:25], v14 offset0:77 offset1:88
	ds_read2_b64 v[8:11], v14 offset0:99 offset1:110
	;; [unrolled: 1-line block ×7, first 2 shown]
	ds_read_b64 v[12:13], v12
	ds_read_b64 v[26:27], v14 offset:1320
	s_waitcnt lgkmcnt(8)
	v_mov_b32_e32 v37, v23
	v_mov_b32_e32 v20, v24
	;; [unrolled: 1-line block ×3, first 2 shown]
	s_waitcnt lgkmcnt(6)
	v_mov_b32_e32 v22, v46
	v_mov_b32_e32 v21, v25
	;; [unrolled: 1-line block ×5, first 2 shown]
	s_waitcnt lgkmcnt(5)
	v_mov_b32_e32 v14, v52
	v_mov_b32_e32 v38, v50
	s_waitcnt lgkmcnt(4)
	v_mov_b32_e32 v46, v81
	v_mov_b32_e32 v24, v79
	;; [unrolled: 1-line block ×8, first 2 shown]
.LBB0_17:
	s_or_b32 exec_lo, exec_lo, s1
	v_cmp_gt_u32_e64 s1, 11, v60
	s_and_b32 s1, vcc_lo, s1
	s_and_saveexec_b32 s4, s1
	s_cbranch_execz .LBB0_19
; %bb.18:
	v_add_nc_u32_e32 v8, -11, v60
	v_mov_b32_e32 v9, 0
	s_mov_b32 s5, 0xbfe6a09e
	s_mov_b32 s8, 0xcf328d46
	;; [unrolled: 1-line block ×3, first 2 shown]
	v_cndmask_b32_e64 v8, v8, v60, s0
	s_mov_b32 s0, 0x667f3bcd
	s_mov_b32 s1, 0x3fe6a09e
	;; [unrolled: 1-line block ×4, first 2 shown]
	v_mul_i32_i24_e32 v8, 15, v8
	v_lshlrev_b64 v[56:57], 4, v[56:57]
	v_lshlrev_b64 v[48:49], 4, v[8:9]
	v_mul_lo_u32 v8, s3, v58
	v_add_co_u32 v127, vcc_lo, s12, v48
	v_add_co_ci_u32_e32 v128, vcc_lo, s13, v49, vcc_lo
	s_mov_b32 s13, 0xbfed906b
	s_mov_b32 s12, s8
	s_clause 0xe
	global_load_dwordx4 v[48:51], v[127:128], off offset:144
	global_load_dwordx4 v[52:55], v[127:128], off offset:16
	global_load_dwordx4 v[79:82], v[127:128], off offset:80
	global_load_dwordx4 v[83:86], v[127:128], off offset:32
	global_load_dwordx4 v[87:90], v[127:128], off offset:96
	global_load_dwordx4 v[91:94], v[127:128], off offset:208
	global_load_dwordx4 v[95:98], v[127:128], off offset:160
	global_load_dwordx4 v[99:102], v[127:128], off offset:192
	global_load_dwordx4 v[103:106], v[127:128], off offset:176
	global_load_dwordx4 v[107:110], v[127:128], off
	global_load_dwordx4 v[111:114], v[127:128], off offset:224
	global_load_dwordx4 v[115:118], v[127:128], off offset:128
	global_load_dwordx4 v[119:122], v[127:128], off offset:64
	global_load_dwordx4 v[123:126], v[127:128], off offset:112
	global_load_dwordx4 v[127:130], v[127:128], off offset:48
	s_waitcnt vmcnt(14)
	v_mul_f64 v[131:132], v[42:43], v[50:51]
	v_mul_f64 v[50:51], v[10:11], v[50:51]
	v_fma_f64 v[10:11], v[10:11], v[48:49], -v[131:132]
	s_waitcnt vmcnt(13)
	v_mul_f64 v[131:132], v[75:76], v[54:55]
	v_mul_f64 v[54:55], v[46:47], v[54:55]
	v_fma_f64 v[42:43], v[42:43], v[48:49], v[50:51]
	s_waitcnt vmcnt(12)
	v_mul_f64 v[48:49], v[44:45], v[81:82]
	v_mul_f64 v[50:51], v[77:78], v[81:82]
	s_waitcnt vmcnt(11)
	v_mul_f64 v[81:82], v[71:72], v[85:86]
	v_mul_f64 v[85:86], v[38:39], v[85:86]
	v_fma_f64 v[46:47], v[46:47], v[52:53], -v[131:132]
	s_waitcnt vmcnt(10)
	v_mul_f64 v[131:132], v[36:37], v[89:90]
	v_fma_f64 v[52:53], v[75:76], v[52:53], v[54:55]
	v_mul_f64 v[54:55], v[69:70], v[89:90]
	s_waitcnt vmcnt(9) lgkmcnt(2)
	v_mul_f64 v[75:76], v[6:7], v[93:94]
	v_mul_f64 v[89:90], v[34:35], v[93:94]
	v_fma_f64 v[48:49], v[77:78], v[79:80], v[48:49]
	s_waitcnt vmcnt(8)
	v_mul_f64 v[77:78], v[28:29], v[97:98]
	v_fma_f64 v[44:45], v[44:45], v[79:80], -v[50:51]
	v_mul_f64 v[50:51], v[0:1], v[97:98]
	s_waitcnt vmcnt(7)
	v_mul_f64 v[79:80], v[4:5], v[101:102]
	s_waitcnt vmcnt(6)
	v_mul_f64 v[93:94], v[2:3], v[105:106]
	v_fma_f64 v[38:39], v[38:39], v[83:84], -v[81:82]
	s_waitcnt vmcnt(5)
	v_mul_f64 v[81:82], v[61:62], v[109:110]
	v_fma_f64 v[71:72], v[71:72], v[83:84], v[85:86]
	s_waitcnt vmcnt(4) lgkmcnt(0)
	v_mul_f64 v[83:84], v[26:27], v[113:114]
	s_waitcnt vmcnt(3)
	v_mul_f64 v[85:86], v[40:41], v[117:118]
	s_waitcnt vmcnt(2)
	v_mul_f64 v[97:98], v[22:23], v[121:122]
	v_mul_f64 v[101:102], v[32:33], v[101:102]
	;; [unrolled: 1-line block ×3, first 2 shown]
	v_add_f64 v[10:11], v[46:47], -v[10:11]
	v_fma_f64 v[69:70], v[69:70], v[87:88], v[131:132]
	v_add_f64 v[42:43], v[52:53], -v[42:43]
	v_fma_f64 v[36:37], v[36:37], v[87:88], -v[54:55]
	s_waitcnt vmcnt(1)
	v_mul_f64 v[54:55], v[63:64], v[125:126]
	s_waitcnt vmcnt(0)
	v_mul_f64 v[87:88], v[14:15], v[129:130]
	v_fma_f64 v[34:35], v[34:35], v[91:92], v[75:76]
	v_fma_f64 v[6:7], v[6:7], v[91:92], -v[89:90]
	v_mul_f64 v[75:76], v[24:25], v[109:110]
	v_mul_f64 v[89:90], v[18:19], v[117:118]
	v_fma_f64 v[0:1], v[0:1], v[95:96], -v[77:78]
	v_fma_f64 v[28:29], v[28:29], v[95:96], v[50:51]
	v_mul_f64 v[50:51], v[65:66], v[121:122]
	v_mul_f64 v[77:78], v[67:68], v[129:130]
	v_fma_f64 v[32:33], v[32:33], v[99:100], v[79:80]
	v_mul_f64 v[79:80], v[30:31], v[105:106]
	v_mul_f64 v[91:92], v[20:21], v[125:126]
	v_fma_f64 v[30:31], v[30:31], v[103:104], v[93:94]
	v_fma_f64 v[24:25], v[24:25], v[107:108], -v[81:82]
	v_fma_f64 v[18:19], v[18:19], v[115:116], -v[85:86]
	v_fma_f64 v[65:66], v[65:66], v[119:120], v[97:98]
	v_fma_f64 v[26:27], v[26:27], v[111:112], -v[113:114]
	v_fma_f64 v[4:5], v[4:5], v[99:100], -v[101:102]
	v_fma_f64 v[46:47], v[46:47], 2.0, -v[10:11]
	v_fma_f64 v[20:21], v[20:21], v[123:124], -v[54:55]
	v_fma_f64 v[54:55], v[67:68], v[127:128], v[87:88]
	v_fma_f64 v[67:68], v[73:74], v[111:112], v[83:84]
	v_add_f64 v[34:35], v[48:49], -v[34:35]
	v_fma_f64 v[61:62], v[61:62], v[107:108], v[75:76]
	v_fma_f64 v[40:41], v[40:41], v[115:116], v[89:90]
	v_add_f64 v[6:7], v[44:45], -v[6:7]
	v_add_f64 v[0:1], v[38:39], -v[0:1]
	v_fma_f64 v[22:23], v[22:23], v[119:120], -v[50:51]
	v_fma_f64 v[14:15], v[14:15], v[127:128], -v[77:78]
	v_add_f64 v[28:29], v[71:72], -v[28:29]
	v_fma_f64 v[2:3], v[2:3], v[103:104], -v[79:80]
	v_fma_f64 v[50:51], v[63:64], v[123:124], v[91:92]
	v_mul_lo_u32 v87, s2, v59
	v_add_f64 v[18:19], v[24:25], -v[18:19]
	v_add_f64 v[32:33], v[65:66], -v[32:33]
	;; [unrolled: 1-line block ×7, first 2 shown]
	v_fma_f64 v[34:35], v[48:49], 2.0, -v[34:35]
	v_add_f64 v[40:41], v[61:62], -v[40:41]
	v_add_f64 v[75:76], v[42:43], v[6:7]
	v_fma_f64 v[6:7], v[44:45], 2.0, -v[6:7]
	v_add_f64 v[4:5], v[22:23], -v[4:5]
	v_fma_f64 v[38:39], v[38:39], 2.0, -v[0:1]
	v_add_f64 v[2:3], v[14:15], -v[2:3]
	v_add_f64 v[50:51], v[16:17], -v[50:51]
	v_fma_f64 v[24:25], v[24:25], 2.0, -v[18:19]
	v_add_f64 v[77:78], v[18:19], -v[32:33]
	v_add_f64 v[81:82], v[28:29], v[26:27]
	v_fma_f64 v[32:33], v[65:66], 2.0, -v[32:33]
	v_fma_f64 v[26:27], v[36:37], 2.0, -v[26:27]
	;; [unrolled: 1-line block ×3, first 2 shown]
	v_add_f64 v[73:74], v[20:21], -v[30:31]
	v_add_f64 v[79:80], v[0:1], -v[63:64]
	v_fma_f64 v[44:45], v[69:70], 2.0, -v[63:64]
	v_fma_f64 v[30:31], v[54:55], 2.0, -v[30:31]
	;; [unrolled: 1-line block ×5, first 2 shown]
	v_add_f64 v[83:84], v[40:41], v[4:5]
	v_fma_f64 v[4:5], v[22:23], 2.0, -v[4:5]
	v_fma_f64 v[22:23], v[71:72], 2.0, -v[28:29]
	v_add_f64 v[6:7], v[46:47], -v[6:7]
	v_add_f64 v[85:86], v[50:51], v[2:3]
	v_fma_f64 v[2:3], v[14:15], 2.0, -v[2:3]
	v_fma_f64 v[14:15], v[52:53], 2.0, -v[42:43]
	;; [unrolled: 1-line block ×5, first 2 shown]
	v_add_f64 v[26:27], v[38:39], -v[26:27]
	v_fma_f64 v[20:21], v[20:21], 2.0, -v[73:74]
	v_fma_f64 v[0:1], v[0:1], 2.0, -v[79:80]
	v_fma_f64 v[52:53], v[79:80], s[0:1], v[77:78]
	v_add_f64 v[32:33], v[48:49], -v[32:33]
	v_fma_f64 v[40:41], v[40:41], 2.0, -v[83:84]
	v_add_f64 v[4:5], v[24:25], -v[4:5]
	v_add_f64 v[44:45], v[22:23], -v[44:45]
	v_fma_f64 v[54:55], v[81:82], s[0:1], v[83:84]
	v_fma_f64 v[42:43], v[50:51], 2.0, -v[85:86]
	v_fma_f64 v[50:51], v[67:68], s[0:1], v[73:74]
	v_add_f64 v[2:3], v[12:13], -v[2:3]
	v_add_f64 v[34:35], v[14:15], -v[34:35]
	;; [unrolled: 1-line block ×3, first 2 shown]
	v_fma_f64 v[61:62], v[75:76], s[0:1], v[85:86]
	v_fma_f64 v[46:47], v[46:47], 2.0, -v[6:7]
	v_fma_f64 v[63:64], v[10:11], s[4:5], v[20:21]
	v_fma_f64 v[65:66], v[0:1], s[4:5], v[18:19]
	;; [unrolled: 1-line block ×3, first 2 shown]
	v_fma_f64 v[48:49], v[48:49], 2.0, -v[32:33]
	v_fma_f64 v[69:70], v[28:29], s[4:5], v[40:41]
	v_fma_f64 v[22:23], v[22:23], 2.0, -v[44:45]
	v_fma_f64 v[54:55], v[79:80], s[0:1], v[54:55]
	v_fma_f64 v[71:72], v[36:37], s[4:5], v[42:43]
	;; [unrolled: 1-line block ×3, first 2 shown]
	v_fma_f64 v[12:13], v[12:13], 2.0, -v[2:3]
	v_fma_f64 v[14:15], v[14:15], 2.0, -v[34:35]
	v_add_f64 v[81:82], v[6:7], v[30:31]
	v_fma_f64 v[6:7], v[16:17], 2.0, -v[30:31]
	v_fma_f64 v[16:17], v[24:25], 2.0, -v[4:5]
	;; [unrolled: 1-line block ×3, first 2 shown]
	v_fma_f64 v[67:68], v[67:68], s[0:1], v[61:62]
	v_add_f64 v[75:76], v[2:3], -v[34:35]
	v_add_f64 v[44:45], v[4:5], -v[44:45]
	v_add_f64 v[79:80], v[32:33], v[26:27]
	v_fma_f64 v[62:63], v[36:37], s[4:5], v[63:64]
	v_fma_f64 v[26:27], v[28:29], s[4:5], v[65:66]
	v_mov_b32_e32 v61, v9
	v_fma_f64 v[28:29], v[0:1], s[0:1], v[69:70]
	v_mad_u64_u32 v[0:1], null, s2, v58, 0
	v_fma_f64 v[34:35], v[83:84], 2.0, -v[54:55]
	v_fma_f64 v[64:65], v[10:11], s[0:1], v[71:72]
	v_add_f64 v[10:11], v[48:49], -v[22:23]
	v_add_f64 v[36:37], v[12:13], -v[46:47]
	v_fma_f64 v[58:59], v[73:74], 2.0, -v[50:51]
	v_fma_f64 v[22:23], v[77:78], 2.0, -v[52:53]
	v_add_f64 v[46:47], v[6:7], -v[14:15]
	v_fma_f64 v[73:74], v[30:31], 2.0, -v[81:82]
	v_add_f64 v[14:15], v[16:17], -v[24:25]
	v_fma_f64 v[69:70], v[85:86], 2.0, -v[67:68]
	v_fma_f64 v[71:72], v[2:3], 2.0, -v[75:76]
	;; [unrolled: 1-line block ×6, first 2 shown]
	v_add3_u32 v1, v1, v87, v8
	v_fma_f64 v[8:9], v[44:45], s[0:1], v[75:76]
	v_fma_f64 v[4:5], v[54:55], s[8:9], v[67:68]
	;; [unrolled: 1-line block ×3, first 2 shown]
	v_fma_f64 v[30:31], v[40:41], 2.0, -v[28:29]
	v_fma_f64 v[2:3], v[52:53], s[8:9], v[50:51]
	s_mov_b32 s2, 0xa6aea964
	s_mov_b32 s3, 0xbfd87de2
	v_fma_f64 v[85:86], v[42:43], 2.0, -v[64:65]
	s_mov_b32 s6, s2
	v_fma_f64 v[91:92], v[12:13], 2.0, -v[36:37]
	v_fma_f64 v[24:25], v[28:29], s[6:7], v[64:65]
	v_fma_f64 v[40:41], v[22:23], s[2:3], v[58:59]
	v_fma_f64 v[95:96], v[6:7], 2.0, -v[46:47]
	v_fma_f64 v[48:49], v[48:49], 2.0, -v[10:11]
	;; [unrolled: 1-line block ×3, first 2 shown]
	v_fma_f64 v[20:21], v[26:27], s[6:7], v[62:63]
	v_fma_f64 v[42:43], v[34:35], s[2:3], v[69:70]
	;; [unrolled: 1-line block ×4, first 2 shown]
	v_lshlrev_b64 v[0:1], 4, v[0:1]
	v_fma_f64 v[97:98], v[83:84], s[12:13], v[77:78]
	v_add_f64 v[10:11], v[36:37], -v[10:11]
	v_fma_f64 v[6:7], v[79:80], s[4:5], v[8:9]
	v_add_f64 v[8:9], v[46:47], v[14:15]
	v_lshlrev_b64 v[60:61], 4, v[60:61]
	v_add_co_u32 v66, vcc_lo, s10, v0
	v_add_co_ci_u32_e32 v101, vcc_lo, s11, v1, vcc_lo
	v_fma_f64 v[99:100], v[30:31], s[12:13], v[85:86]
	v_fma_f64 v[0:1], v[52:53], s[6:7], v[4:5]
	;; [unrolled: 1-line block ×6, first 2 shown]
	v_add_f64 v[24:25], v[95:96], -v[48:49]
	v_add_f64 v[26:27], v[91:92], -v[93:94]
	v_fma_f64 v[14:15], v[28:29], s[12:13], v[20:21]
	v_fma_f64 v[16:17], v[22:23], s[8:9], v[42:43]
	;; [unrolled: 1-line block ×4, first 2 shown]
	v_add_co_u32 v32, vcc_lo, v66, v56
	v_fma_f64 v[30:31], v[30:31], s[2:3], v[97:98]
	v_add_co_ci_u32_e32 v33, vcc_lo, v101, v57, vcc_lo
	v_add_co_u32 v79, vcc_lo, v32, v60
	v_fma_f64 v[42:43], v[36:37], 2.0, -v[10:11]
	v_fma_f64 v[40:41], v[46:47], 2.0, -v[8:9]
	;; [unrolled: 1-line block ×3, first 2 shown]
	v_fma_f64 v[28:29], v[83:84], s[6:7], v[99:100]
	v_add_co_ci_u32_e32 v80, vcc_lo, v33, v61, vcc_lo
	v_fma_f64 v[36:37], v[81:82], 2.0, -v[4:5]
	v_fma_f64 v[34:35], v[50:51], 2.0, -v[2:3]
	;; [unrolled: 1-line block ×12, first 2 shown]
	v_add_co_u32 v64, vcc_lo, 0x800, v79
	v_add_co_ci_u32_e32 v65, vcc_lo, 0, v80, vcc_lo
	v_fma_f64 v[60:61], v[85:86], 2.0, -v[28:29]
	global_store_dwordx4 v[64:65], v[8:11], off offset:64
	global_store_dwordx4 v[64:65], v[4:7], off offset:416
	;; [unrolled: 1-line block ×9, first 2 shown]
	global_store_dwordx4 v[79:80], v[56:59], off
	global_store_dwordx4 v[79:80], v[52:55], off offset:352
	global_store_dwordx4 v[79:80], v[48:51], off offset:528
	;; [unrolled: 1-line block ×6, first 2 shown]
.LBB0_19:
	s_endpgm
	.section	.rodata,"a",@progbits
	.p2align	6, 0x0
	.amdhsa_kernel fft_rtc_back_len176_factors_11_16_wgs_64_tpt_16_halfLds_dp_op_CI_CI_unitstride_sbrr_dirReg
		.amdhsa_group_segment_fixed_size 0
		.amdhsa_private_segment_fixed_size 0
		.amdhsa_kernarg_size 104
		.amdhsa_user_sgpr_count 6
		.amdhsa_user_sgpr_private_segment_buffer 1
		.amdhsa_user_sgpr_dispatch_ptr 0
		.amdhsa_user_sgpr_queue_ptr 0
		.amdhsa_user_sgpr_kernarg_segment_ptr 1
		.amdhsa_user_sgpr_dispatch_id 0
		.amdhsa_user_sgpr_flat_scratch_init 0
		.amdhsa_user_sgpr_private_segment_size 0
		.amdhsa_wavefront_size32 1
		.amdhsa_uses_dynamic_stack 0
		.amdhsa_system_sgpr_private_segment_wavefront_offset 0
		.amdhsa_system_sgpr_workgroup_id_x 1
		.amdhsa_system_sgpr_workgroup_id_y 0
		.amdhsa_system_sgpr_workgroup_id_z 0
		.amdhsa_system_sgpr_workgroup_info 0
		.amdhsa_system_vgpr_workitem_id 0
		.amdhsa_next_free_vgpr 137
		.amdhsa_next_free_sgpr 38
		.amdhsa_reserve_vcc 1
		.amdhsa_reserve_flat_scratch 0
		.amdhsa_float_round_mode_32 0
		.amdhsa_float_round_mode_16_64 0
		.amdhsa_float_denorm_mode_32 3
		.amdhsa_float_denorm_mode_16_64 3
		.amdhsa_dx10_clamp 1
		.amdhsa_ieee_mode 1
		.amdhsa_fp16_overflow 0
		.amdhsa_workgroup_processor_mode 1
		.amdhsa_memory_ordered 1
		.amdhsa_forward_progress 0
		.amdhsa_shared_vgpr_count 0
		.amdhsa_exception_fp_ieee_invalid_op 0
		.amdhsa_exception_fp_denorm_src 0
		.amdhsa_exception_fp_ieee_div_zero 0
		.amdhsa_exception_fp_ieee_overflow 0
		.amdhsa_exception_fp_ieee_underflow 0
		.amdhsa_exception_fp_ieee_inexact 0
		.amdhsa_exception_int_div_zero 0
	.end_amdhsa_kernel
	.text
.Lfunc_end0:
	.size	fft_rtc_back_len176_factors_11_16_wgs_64_tpt_16_halfLds_dp_op_CI_CI_unitstride_sbrr_dirReg, .Lfunc_end0-fft_rtc_back_len176_factors_11_16_wgs_64_tpt_16_halfLds_dp_op_CI_CI_unitstride_sbrr_dirReg
                                        ; -- End function
	.section	.AMDGPU.csdata,"",@progbits
; Kernel info:
; codeLenInByte = 6788
; NumSgprs: 40
; NumVgprs: 137
; ScratchSize: 0
; MemoryBound: 1
; FloatMode: 240
; IeeeMode: 1
; LDSByteSize: 0 bytes/workgroup (compile time only)
; SGPRBlocks: 4
; VGPRBlocks: 17
; NumSGPRsForWavesPerEU: 40
; NumVGPRsForWavesPerEU: 137
; Occupancy: 7
; WaveLimiterHint : 1
; COMPUTE_PGM_RSRC2:SCRATCH_EN: 0
; COMPUTE_PGM_RSRC2:USER_SGPR: 6
; COMPUTE_PGM_RSRC2:TRAP_HANDLER: 0
; COMPUTE_PGM_RSRC2:TGID_X_EN: 1
; COMPUTE_PGM_RSRC2:TGID_Y_EN: 0
; COMPUTE_PGM_RSRC2:TGID_Z_EN: 0
; COMPUTE_PGM_RSRC2:TIDIG_COMP_CNT: 0
	.text
	.p2alignl 6, 3214868480
	.fill 48, 4, 3214868480
	.type	__hip_cuid_dc4d252db7bbdda0,@object ; @__hip_cuid_dc4d252db7bbdda0
	.section	.bss,"aw",@nobits
	.globl	__hip_cuid_dc4d252db7bbdda0
__hip_cuid_dc4d252db7bbdda0:
	.byte	0                               ; 0x0
	.size	__hip_cuid_dc4d252db7bbdda0, 1

	.ident	"AMD clang version 19.0.0git (https://github.com/RadeonOpenCompute/llvm-project roc-6.4.0 25133 c7fe45cf4b819c5991fe208aaa96edf142730f1d)"
	.section	".note.GNU-stack","",@progbits
	.addrsig
	.addrsig_sym __hip_cuid_dc4d252db7bbdda0
	.amdgpu_metadata
---
amdhsa.kernels:
  - .args:
      - .actual_access:  read_only
        .address_space:  global
        .offset:         0
        .size:           8
        .value_kind:     global_buffer
      - .offset:         8
        .size:           8
        .value_kind:     by_value
      - .actual_access:  read_only
        .address_space:  global
        .offset:         16
        .size:           8
        .value_kind:     global_buffer
      - .actual_access:  read_only
        .address_space:  global
        .offset:         24
        .size:           8
        .value_kind:     global_buffer
      - .actual_access:  read_only
        .address_space:  global
        .offset:         32
        .size:           8
        .value_kind:     global_buffer
      - .offset:         40
        .size:           8
        .value_kind:     by_value
      - .actual_access:  read_only
        .address_space:  global
        .offset:         48
        .size:           8
        .value_kind:     global_buffer
      - .actual_access:  read_only
        .address_space:  global
        .offset:         56
        .size:           8
        .value_kind:     global_buffer
      - .offset:         64
        .size:           4
        .value_kind:     by_value
      - .actual_access:  read_only
        .address_space:  global
        .offset:         72
        .size:           8
        .value_kind:     global_buffer
      - .actual_access:  read_only
        .address_space:  global
        .offset:         80
        .size:           8
        .value_kind:     global_buffer
      - .actual_access:  read_only
        .address_space:  global
        .offset:         88
        .size:           8
        .value_kind:     global_buffer
      - .actual_access:  write_only
        .address_space:  global
        .offset:         96
        .size:           8
        .value_kind:     global_buffer
    .group_segment_fixed_size: 0
    .kernarg_segment_align: 8
    .kernarg_segment_size: 104
    .language:       OpenCL C
    .language_version:
      - 2
      - 0
    .max_flat_workgroup_size: 64
    .name:           fft_rtc_back_len176_factors_11_16_wgs_64_tpt_16_halfLds_dp_op_CI_CI_unitstride_sbrr_dirReg
    .private_segment_fixed_size: 0
    .sgpr_count:     40
    .sgpr_spill_count: 0
    .symbol:         fft_rtc_back_len176_factors_11_16_wgs_64_tpt_16_halfLds_dp_op_CI_CI_unitstride_sbrr_dirReg.kd
    .uniform_work_group_size: 1
    .uses_dynamic_stack: false
    .vgpr_count:     137
    .vgpr_spill_count: 0
    .wavefront_size: 32
    .workgroup_processor_mode: 1
amdhsa.target:   amdgcn-amd-amdhsa--gfx1030
amdhsa.version:
  - 1
  - 2
...

	.end_amdgpu_metadata
